;; amdgpu-corpus repo=ROCm/rocFFT kind=compiled arch=gfx906 opt=O3
	.text
	.amdgcn_target "amdgcn-amd-amdhsa--gfx906"
	.amdhsa_code_object_version 6
	.protected	bluestein_single_back_len1386_dim1_sp_op_CI_CI ; -- Begin function bluestein_single_back_len1386_dim1_sp_op_CI_CI
	.globl	bluestein_single_back_len1386_dim1_sp_op_CI_CI
	.p2align	8
	.type	bluestein_single_back_len1386_dim1_sp_op_CI_CI,@function
bluestein_single_back_len1386_dim1_sp_op_CI_CI: ; @bluestein_single_back_len1386_dim1_sp_op_CI_CI
; %bb.0:
	s_load_dwordx4 s[16:19], s[4:5], 0x28
	v_mul_u32_u24_e32 v1, 0x11c, v0
	v_add_u32_sdwa v68, s6, v1 dst_sel:DWORD dst_unused:UNUSED_PAD src0_sel:DWORD src1_sel:WORD_1
	v_mov_b32_e32 v69, 0
	s_waitcnt lgkmcnt(0)
	v_cmp_gt_u64_e32 vcc, s[16:17], v[68:69]
	s_and_saveexec_b64 s[0:1], vcc
	s_cbranch_execz .LBB0_18
; %bb.1:
	s_load_dwordx4 s[0:3], s[4:5], 0x18
	s_load_dwordx4 s[8:11], s[4:5], 0x0
	s_movk_i32 s16, 0xe7
	v_mul_lo_u16_sdwa v1, v1, s16 dst_sel:DWORD dst_unused:UNUSED_PAD src0_sel:WORD_1 src1_sel:DWORD
	v_sub_u16_e32 v83, v0, v1
	s_waitcnt lgkmcnt(0)
	s_load_dwordx4 s[12:15], s[0:1], 0x0
	v_lshlrev_b32_e32 v84, 3, v83
	v_mov_b32_e32 v10, 0xfffff190
	global_load_dwordx2 v[75:76], v84, s[8:9]
	v_lshlrev_b32_e32 v88, 4, v83
	s_waitcnt lgkmcnt(0)
	v_mad_u64_u32 v[0:1], s[0:1], s14, v68, 0
	v_mad_u64_u32 v[2:3], s[0:1], s12, v83, 0
	s_mul_i32 s7, s12, 0x15a8
	s_movk_i32 s14, 0x1000
	v_mad_u64_u32 v[4:5], s[0:1], s15, v68, v[1:2]
                                        ; implicit-def: $vgpr24
	v_mad_u64_u32 v[5:6], s[0:1], s13, v83, v[3:4]
	v_mov_b32_e32 v1, v4
	v_lshlrev_b64 v[0:1], 3, v[0:1]
	v_mov_b32_e32 v6, s19
	v_mov_b32_e32 v3, v5
	v_add_co_u32_e32 v4, vcc, s18, v0
	v_addc_co_u32_e32 v5, vcc, v6, v1, vcc
	v_lshlrev_b64 v[0:1], 3, v[2:3]
	v_mov_b32_e32 v2, s9
	v_add_co_u32_e32 v0, vcc, v4, v0
	v_addc_co_u32_e32 v1, vcc, v5, v1, vcc
	v_add_co_u32_e32 v14, vcc, s8, v84
	s_mul_i32 s0, s13, 0x15a8
	s_mul_hi_u32 s1, s12, 0x15a8
	v_addc_co_u32_e32 v15, vcc, 0, v2, vcc
	s_add_i32 s6, s1, s0
	v_mov_b32_e32 v3, s6
	v_add_co_u32_e32 v2, vcc, s7, v0
	v_addc_co_u32_e32 v3, vcc, v1, v3, vcc
	global_load_dwordx2 v[4:5], v[0:1], off
	global_load_dwordx2 v[6:7], v[2:3], off
	v_mad_u64_u32 v[0:1], s[0:1], s12, v10, v[2:3]
	v_add_co_u32_e32 v2, vcc, s14, v14
	s_mul_i32 s0, s13, 0xfffff190
	v_addc_co_u32_e32 v3, vcc, 0, v15, vcc
	s_sub_i32 s13, s0, s12
	v_add_u32_e32 v1, s13, v1
	v_mov_b32_e32 v9, s6
	v_add_co_u32_e32 v8, vcc, s7, v0
	v_addc_co_u32_e32 v9, vcc, v1, v9, vcc
	v_mad_u64_u32 v[10:11], s[0:1], s12, v10, v[8:9]
	global_load_dwordx2 v[12:13], v[8:9], off
	global_load_dwordx2 v[79:80], v[2:3], off offset:1448
	global_load_dwordx2 v[73:74], v[2:3], off offset:3296
	s_movk_i32 s0, 0x2000
	v_add_u32_e32 v11, s13, v11
	global_load_dwordx2 v[2:3], v[0:1], off
	global_load_dwordx2 v[8:9], v[10:11], off
	global_load_dwordx2 v[77:78], v84, s[8:9] offset:1848
	global_load_dwordx2 v[69:70], v84, s[8:9] offset:3696
	v_mov_b32_e32 v1, s6
	v_add_co_u32_e32 v0, vcc, s7, v10
	v_addc_co_u32_e32 v1, vcc, v11, v1, vcc
	v_add_co_u32_e32 v10, vcc, s0, v14
	v_addc_co_u32_e32 v11, vcc, 0, v15, vcc
	global_load_dwordx2 v[71:72], v[10:11], off offset:1048
	global_load_dwordx2 v[14:15], v[0:1], off
	v_add_u32_e32 v10, 0x1c80, v84
	s_load_dwordx2 s[12:13], s[4:5], 0x38
	v_add_co_u32_e32 v26, vcc, s16, v83
	s_load_dwordx4 s[4:7], s[2:3], 0x0
	s_movk_i32 s0, 0xc6
	v_lshlrev_b32_e32 v89, 4, v26
	v_cmp_gt_u16_e32 vcc, s0, v83
	s_waitcnt vmcnt(10)
	v_mul_f32_e32 v0, v5, v76
	v_mul_f32_e32 v1, v4, v76
	v_fmac_f32_e32 v0, v4, v75
	v_fma_f32 v1, v5, v75, -v1
	s_waitcnt vmcnt(7)
	v_mul_f32_e32 v4, v7, v80
	v_mul_f32_e32 v5, v6, v80
	v_fmac_f32_e32 v4, v6, v79
	v_fma_f32 v5, v7, v79, -v5
	ds_write_b64 v84, v[4:5] offset:5544
	s_waitcnt vmcnt(3)
	v_mul_f32_e32 v4, v3, v78
	v_mul_f32_e32 v5, v2, v78
	v_fmac_f32_e32 v4, v2, v77
	v_fma_f32 v5, v3, v77, -v5
	v_mul_f32_e32 v2, v13, v74
	v_mul_f32_e32 v3, v12, v74
	ds_write2_b64 v84, v[0:1], v[4:5] offset1:231
	v_fmac_f32_e32 v2, v12, v73
	v_fma_f32 v3, v13, v73, -v3
	s_waitcnt vmcnt(0)
	v_mul_f32_e32 v4, v15, v72
	v_mul_f32_e32 v5, v14, v72
	;; [unrolled: 1-line block ×4, first 2 shown]
	v_fmac_f32_e32 v4, v14, v71
	v_fma_f32 v5, v15, v71, -v5
	v_fmac_f32_e32 v0, v8, v69
	v_fma_f32 v1, v9, v69, -v1
	ds_write2_b64 v10, v[2:3], v[4:5] offset0:12 offset1:243
	v_add_u32_e32 v4, 0xe00, v84
	ds_write_b64 v84, v[0:1] offset:3696
	s_waitcnt lgkmcnt(0)
	s_barrier
	ds_read2_b64 v[0:3], v84 offset1:231
	ds_read2_b64 v[4:7], v4 offset0:14 offset1:245
	ds_read2_b64 v[8:11], v10 offset0:12 offset1:243
	s_waitcnt lgkmcnt(0)
	s_barrier
	v_sub_f32_e32 v14, v0, v6
	v_sub_f32_e32 v15, v1, v7
	;; [unrolled: 1-line block ×6, first 2 shown]
	v_fma_f32 v12, v0, 2.0, -v14
	v_fma_f32 v13, v1, 2.0, -v15
	;; [unrolled: 1-line block ×6, first 2 shown]
	ds_write_b128 v88, v[12:15]
	ds_write_b128 v89, v[16:19]
	ds_write_b128 v88, v[20:23] offset:7392
	s_waitcnt lgkmcnt(0)
	s_barrier
	s_and_saveexec_b64 s[0:1], vcc
	s_cbranch_execz .LBB0_3
; %bb.2:
	v_add_u32_e32 v0, 0xc00, v84
	ds_read2_b64 v[16:19], v0 offset0:12 offset1:210
	v_add_u32_e32 v0, 0x1800, v84
	ds_read2_b64 v[12:15], v84 offset1:198
	ds_read2_b64 v[20:23], v0 offset0:24 offset1:222
	ds_read_b64 v[24:25], v84 offset:9504
.LBB0_3:
	s_or_b64 exec, exec, s[0:1]
	v_and_b32_e32 v87, 1, v83
	v_mul_u32_u24_e32 v0, 6, v87
	v_lshlrev_b32_e32 v27, 3, v0
	global_load_dwordx4 v[8:11], v27, s[10:11]
	global_load_dwordx4 v[4:7], v27, s[10:11] offset:16
	global_load_dwordx4 v[0:3], v27, s[10:11] offset:32
	v_lshrrev_b32_e32 v90, 1, v83
	s_waitcnt vmcnt(0) lgkmcnt(0)
	s_barrier
	v_mul_f32_e32 v27, v15, v9
	v_mul_f32_e32 v28, v14, v9
	;; [unrolled: 1-line block ×12, first 2 shown]
	v_fma_f32 v27, v14, v8, -v27
	v_fmac_f32_e32 v28, v15, v8
	v_fma_f32 v29, v16, v10, -v29
	v_fmac_f32_e32 v30, v17, v10
	v_fma_f32 v17, v22, v0, -v35
	v_fmac_f32_e32 v36, v23, v0
	v_fma_f32 v15, v24, v2, -v37
	v_fmac_f32_e32 v38, v25, v2
	v_fma_f32 v31, v18, v4, -v31
	v_fmac_f32_e32 v32, v19, v4
	v_fma_f32 v33, v20, v6, -v33
	v_fmac_f32_e32 v34, v21, v6
	v_add_f32_e32 v14, v27, v15
	v_add_f32_e32 v18, v28, v38
	;; [unrolled: 1-line block ×4, first 2 shown]
	v_sub_f32_e32 v20, v27, v15
	v_sub_f32_e32 v15, v28, v38
	;; [unrolled: 1-line block ×4, first 2 shown]
	v_add_f32_e32 v21, v31, v33
	v_add_f32_e32 v22, v32, v34
	v_sub_f32_e32 v24, v33, v31
	v_sub_f32_e32 v25, v34, v32
	v_add_f32_e32 v27, v16, v14
	v_add_f32_e32 v28, v19, v18
	v_sub_f32_e32 v29, v14, v21
	v_sub_f32_e32 v30, v18, v22
	;; [unrolled: 4-line block ×3, first 2 shown]
	v_sub_f32_e32 v24, v20, v24
	v_sub_f32_e32 v25, v15, v25
	v_add_f32_e32 v27, v21, v27
	v_add_f32_e32 v39, v22, v28
	;; [unrolled: 1-line block ×4, first 2 shown]
	v_mul_f32_e32 v28, 0x3f4a47b2, v29
	v_mul_f32_e32 v35, 0x3f4a47b2, v30
	;; [unrolled: 1-line block ×4, first 2 shown]
	v_add_f32_e32 v12, v12, v27
	v_add_f32_e32 v13, v13, v39
	v_sub_f32_e32 v31, v21, v16
	v_sub_f32_e32 v32, v22, v19
	v_mov_b32_e32 v25, v28
	v_mov_b32_e32 v40, v35
	v_mov_b32_e32 v21, v36
	v_mov_b32_e32 v22, v29
	v_mov_b32_e32 v24, v12
	v_mov_b32_e32 v30, v13
	v_fmac_f32_e32 v25, 0x3d64c772, v31
	v_fmac_f32_e32 v40, 0x3d64c772, v32
	;; [unrolled: 1-line block ×8, first 2 shown]
	v_add_f32_e32 v25, v25, v24
	v_add_f32_e32 v27, v40, v30
	v_sub_f32_e32 v44, v25, v22
	v_add_f32_e32 v45, v21, v27
	s_and_saveexec_b64 s[0:1], vcc
	s_cbranch_execz .LBB0_5
; %bb.4:
	s_mov_b32 s3, 0xbf3bfb3b
	v_sub_f32_e32 v14, v16, v14
	v_sub_f32_e32 v20, v23, v20
	s_mov_b32 s2, 0xbf5ff5aa
	v_fma_f32 v16, v14, s3, -v28
	v_sub_f32_e32 v28, v17, v15
	v_mul_f32_e32 v32, 0x3d64c772, v32
	v_mul_f32_e32 v38, 0x3ee1c552, v38
	v_fma_f32 v23, v20, s2, -v36
	v_sub_f32_e32 v19, v19, v18
	v_fma_f32 v15, v28, s2, -v29
	s_mov_b32 s2, 0x3f3bfb3b
	v_mul_f32_e32 v31, 0x3d64c772, v31
	v_mul_f32_e32 v33, 0xbf08b237, v33
	;; [unrolled: 1-line block ×3, first 2 shown]
	v_fma_f32 v18, v19, s3, -v35
	v_add_f32_e32 v29, v38, v15
	v_fma_f32 v15, v19, s2, -v32
	s_mov_b32 s3, 0x3f5ff5aa
	v_mul_f32_e32 v37, 0x3ee1c552, v37
	v_add_f32_e32 v19, v15, v30
	v_fma_f32 v15, v20, s3, -v33
	v_fma_f32 v28, v28, s3, -v34
	v_fma_f32 v14, v14, s2, -v31
	v_add_f32_e32 v23, v37, v23
	v_add_f32_e32 v35, v18, v30
	;; [unrolled: 1-line block ×7, first 2 shown]
	v_sub_f32_e32 v17, v16, v29
	v_sub_f32_e32 v15, v19, v20
	v_add_f32_e32 v14, v28, v24
	v_add_f32_e32 v20, v20, v19
	v_sub_f32_e32 v19, v24, v28
	v_sub_f32_e32 v24, v35, v23
	v_add_f32_e32 v23, v29, v16
	v_mul_u32_u24_e32 v16, 14, v90
	v_or_b32_e32 v16, v16, v87
	v_sub_f32_e32 v28, v27, v21
	v_add_f32_e32 v27, v22, v25
	v_lshlrev_b32_e32 v16, 3, v16
	ds_write2_b64 v16, v[12:13], v[27:28] offset1:2
	ds_write2_b64 v16, v[23:24], v[19:20] offset0:4 offset1:6
	ds_write2_b64 v16, v[14:15], v[17:18] offset0:8 offset1:10
	ds_write_b64 v16, v[44:45] offset:96
.LBB0_5:
	s_or_b64 exec, exec, s[0:1]
	v_add_u32_e32 v12, 0xe00, v84
	s_waitcnt lgkmcnt(0)
	s_barrier
	ds_read2_b64 v[21:24], v12 offset0:14 offset1:245
	v_add_u32_e32 v12, 0x1c80, v84
	ds_read2_b64 v[27:30], v12 offset0:12 offset1:243
	v_lshrrev_b16_e32 v12, 1, v83
	v_and_b32_e32 v20, 0x7f, v12
	v_mul_lo_u16_e32 v12, 0x93, v20
	v_lshrrev_b16_e32 v25, 10, v12
	v_mul_lo_u16_e32 v12, 14, v25
	v_sub_u16_e32 v12, v83, v12
	v_and_b32_e32 v31, 0xff, v12
	v_lshlrev_b32_e32 v12, 4, v31
	global_load_dwordx4 v[12:15], v12, s[10:11] offset:96
	v_mov_b32_e32 v17, s11
	ds_read2_b64 v[48:51], v84 offset1:231
	v_lshlrev_b32_e32 v62, 1, v83
                                        ; implicit-def: $vgpr56
                                        ; implicit-def: $vgpr60
	s_waitcnt vmcnt(0) lgkmcnt(2)
	v_mul_f32_e32 v16, v22, v13
	v_fma_f32 v32, v21, v12, -v16
	v_mul_f32_e32 v21, v21, v13
	s_waitcnt lgkmcnt(1)
	v_mul_f32_e32 v16, v28, v15
	v_fmac_f32_e32 v21, v22, v12
	v_fma_f32 v22, v27, v14, -v16
	v_lshrrev_b16_e32 v16, 1, v26
	v_mul_f32_e32 v27, v27, v15
	v_mul_u32_u24_e32 v16, 0x4925, v16
	v_fmac_f32_e32 v27, v28, v14
	v_lshrrev_b32_e32 v28, 17, v16
	v_mul_lo_u16_e32 v16, 14, v28
	v_sub_u16_e32 v26, v26, v16
	v_lshlrev_b16_e32 v16, 4, v26
	v_add_co_u32_e64 v16, s[0:1], s10, v16
	v_addc_co_u32_e64 v17, s[0:1], 0, v17, s[0:1]
	global_load_dwordx4 v[16:19], v[16:17], off offset:96
	s_movk_i32 s0, 0x7e
	v_cmp_gt_u16_e64 s[0:1], s0, v83
	s_waitcnt vmcnt(0) lgkmcnt(0)
	s_barrier
	v_mul_f32_e32 v33, v24, v17
	v_fma_f32 v33, v23, v16, -v33
	v_mul_f32_e32 v23, v23, v17
	v_fmac_f32_e32 v23, v24, v16
	v_mul_f32_e32 v24, v30, v19
	v_fma_f32 v24, v29, v18, -v24
	v_mul_f32_e32 v29, v29, v19
	v_fmac_f32_e32 v29, v30, v18
	v_add_f32_e32 v30, v48, v32
	v_add_f32_e32 v40, v30, v22
	;; [unrolled: 1-line block ×3, first 2 shown]
	v_fma_f32 v52, -0.5, v30, v48
	v_sub_f32_e32 v30, v21, v27
	v_mov_b32_e32 v42, v52
	v_fmac_f32_e32 v42, 0x3f5db3d7, v30
	v_fmac_f32_e32 v52, 0xbf5db3d7, v30
	v_add_f32_e32 v30, v49, v21
	v_add_f32_e32 v21, v21, v27
	v_fma_f32 v53, -0.5, v21, v49
	v_sub_f32_e32 v21, v32, v22
	v_mov_b32_e32 v43, v53
	v_fmac_f32_e32 v43, 0xbf5db3d7, v21
	v_fmac_f32_e32 v53, 0x3f5db3d7, v21
	v_add_f32_e32 v21, v50, v33
	v_add_f32_e32 v54, v21, v24
	;; [unrolled: 1-line block ×3, first 2 shown]
	v_fma_f32 v50, -0.5, v21, v50
	v_sub_f32_e32 v21, v23, v29
	v_mov_b32_e32 v48, v50
	v_fmac_f32_e32 v48, 0x3f5db3d7, v21
	v_fmac_f32_e32 v50, 0xbf5db3d7, v21
	v_add_f32_e32 v21, v51, v23
	v_add_f32_e32 v55, v21, v29
	;; [unrolled: 1-line block ×3, first 2 shown]
	v_fmac_f32_e32 v51, -0.5, v21
	v_sub_f32_e32 v21, v33, v24
	v_mov_b32_e32 v49, v51
	v_fmac_f32_e32 v49, 0xbf5db3d7, v21
	v_fmac_f32_e32 v51, 0x3f5db3d7, v21
	v_mul_u32_u24_e32 v21, 42, v25
	v_add_lshl_u32 v92, v21, v31, 3
	v_mad_legacy_u16 v21, v28, 42, v26
	v_add_f32_e32 v41, v30, v27
	v_lshlrev_b32_e32 v91, 3, v21
	ds_write2_b64 v92, v[40:41], v[42:43] offset1:14
	ds_write_b64 v92, v[52:53] offset:224
	ds_write2_b64 v91, v[54:55], v[48:49] offset1:14
	ds_write_b64 v91, v[50:51] offset:224
	s_waitcnt lgkmcnt(0)
	s_barrier
	s_and_saveexec_b64 s[2:3], s[0:1]
	s_cbranch_execz .LBB0_7
; %bb.6:
	v_add_u32_e32 v21, 0x400, v84
	ds_read2_b64 v[52:55], v21 offset0:124 offset1:250
	v_add_u32_e32 v21, 0xc00, v84
	ds_read2_b64 v[48:51], v21 offset0:120 offset1:246
	;; [unrolled: 2-line block ×3, first 2 shown]
	v_add_u32_e32 v21, 0x1c00, v84
	ds_read2_b64 v[40:43], v84 offset1:126
	ds_read2_b64 v[56:59], v21 offset0:112 offset1:238
	ds_read_b64 v[60:61], v84 offset:10080
.LBB0_7:
	s_or_b64 exec, exec, s[2:3]
	v_mul_lo_u16_e32 v20, 49, v20
	v_lshrrev_b16_e32 v85, 10, v20
	v_mul_lo_u16_e32 v20, 42, v85
	v_sub_u16_e32 v20, v83, v20
	v_and_b32_e32 v86, 0xff, v20
	v_mov_b32_e32 v21, s11
	s_movk_i32 s2, 0x50
	v_mov_b32_e32 v20, s10
	v_mad_u64_u32 v[63:64], s[2:3], v86, s2, v[20:21]
	global_load_dwordx4 v[32:35], v[63:64], off offset:320
	global_load_dwordx4 v[28:31], v[63:64], off offset:336
	;; [unrolled: 1-line block ×5, first 2 shown]
	s_mov_b32 s14, 0x3f575c64
	s_mov_b32 s2, 0x3ed4b147
	;; [unrolled: 1-line block ×5, first 2 shown]
	s_waitcnt vmcnt(0) lgkmcnt(0)
	s_barrier
	v_mul_f32_e32 v63, v42, v33
	v_mul_f32_e32 v64, v52, v35
	v_fmac_f32_e32 v63, v43, v32
	v_mul_f32_e32 v81, v43, v33
	v_mul_f32_e32 v98, v60, v39
	;; [unrolled: 1-line block ×3, first 2 shown]
	v_fmac_f32_e32 v98, v61, v38
	v_mul_f32_e32 v82, v53, v35
	v_mul_f32_e32 v65, v54, v29
	;; [unrolled: 1-line block ×7, first 2 shown]
	v_fmac_f32_e32 v64, v53, v34
	v_fmac_f32_e32 v97, v59, v36
	v_sub_f32_e32 v53, v63, v98
	v_mul_f32_e32 v100, v49, v31
	v_mul_f32_e32 v66, v48, v31
	;; [unrolled: 1-line block ×5, first 2 shown]
	v_fma_f32 v42, v42, v32, -v81
	v_fmac_f32_e32 v65, v55, v28
	v_fmac_f32_e32 v94, v45, v22
	v_fma_f32 v45, v46, v24, -v103
	v_fma_f32 v46, v56, v26, -v104
	v_fmac_f32_e32 v96, v57, v26
	v_fma_f32 v56, v60, v38, -v106
	v_sub_f32_e32 v148, v64, v97
	v_mul_f32_e32 v57, 0xbf0a6770, v53
	v_mul_f32_e32 v93, v55, v29
	;; [unrolled: 1-line block ×3, first 2 shown]
	v_fma_f32 v43, v52, v34, -v82
	v_fma_f32 v100, v48, v30, -v100
	v_fmac_f32_e32 v66, v49, v30
	v_fmac_f32_e32 v95, v47, v24
	v_fma_f32 v47, v58, v36, -v105
	v_add_f32_e32 v105, v42, v56
	v_sub_f32_e32 v52, v42, v56
	v_sub_f32_e32 v149, v65, v96
	v_mul_f32_e32 v58, 0xbf68dda4, v148
	v_mov_b32_e32 v48, v57
	v_mul_f32_e32 v67, v50, v21
	v_fma_f32 v99, v54, v28, -v93
	v_fma_f32 v101, v50, v20, -v101
	v_add_f32_e32 v106, v63, v98
	v_add_f32_e32 v107, v43, v47
	v_sub_f32_e32 v93, v43, v47
	v_sub_f32_e32 v155, v66, v95
	v_mul_f32_e32 v61, 0xbf0a6770, v52
	v_mul_f32_e32 v59, 0xbf7d64f0, v149
	v_mov_b32_e32 v50, v58
	v_fmac_f32_e32 v48, 0x3f575c64, v105
	v_fma_f32 v44, v44, v22, -v102
	v_add_f32_e32 v108, v64, v97
	v_add_f32_e32 v111, v99, v46
	v_sub_f32_e32 v150, v99, v46
	v_mul_f32_e32 v102, 0xbf68dda4, v93
	v_mul_f32_e32 v60, 0xbf4178ce, v155
	v_fma_f32 v49, v106, s14, -v61
	v_mov_b32_e32 v54, v59
	v_fmac_f32_e32 v50, 0x3ed4b147, v107
	v_add_f32_e32 v48, v40, v48
	v_fmac_f32_e32 v67, v51, v20
	v_add_f32_e32 v112, v65, v96
	v_add_f32_e32 v116, v100, v45
	v_sub_f32_e32 v153, v100, v45
	v_mul_f32_e32 v103, 0xbf7d64f0, v150
	v_fma_f32 v51, v108, s2, -v102
	v_add_f32_e32 v49, v41, v49
	v_fmac_f32_e32 v54, 0xbe11bafb, v111
	v_add_f32_e32 v48, v50, v48
	v_mov_b32_e32 v50, v60
	v_add_f32_e32 v117, v66, v95
	v_mul_f32_e32 v104, 0xbf4178ce, v153
	v_fma_f32 v55, v112, s3, -v103
	v_add_f32_e32 v49, v51, v49
	v_add_f32_e32 v48, v54, v48
	v_fmac_f32_e32 v50, 0xbf27a4f4, v116
	v_sub_f32_e32 v157, v67, v94
	v_add_f32_e32 v49, v55, v49
	v_add_f32_e32 v48, v50, v48
	v_fma_f32 v50, v117, s15, -v104
	v_mul_f32_e32 v109, 0xbe903f40, v157
	v_add_f32_e32 v49, v50, v49
	v_add_f32_e32 v127, v101, v44
	v_sub_f32_e32 v156, v101, v44
	v_mov_b32_e32 v50, v109
	v_add_f32_e32 v128, v67, v94
	v_fmac_f32_e32 v50, 0xbf75a155, v127
	v_mul_f32_e32 v110, 0xbe903f40, v156
	v_add_f32_e32 v81, v50, v48
	v_fma_f32 v48, v128, s16, -v110
	v_mul_f32_e32 v113, 0xbf68dda4, v53
	v_add_f32_e32 v82, v48, v49
	v_mov_b32_e32 v48, v113
	v_mul_f32_e32 v114, 0xbf4178ce, v148
	v_fmac_f32_e32 v48, 0x3ed4b147, v105
	v_mov_b32_e32 v49, v114
	v_add_f32_e32 v48, v40, v48
	v_fmac_f32_e32 v49, 0xbf27a4f4, v107
	v_mul_f32_e32 v119, 0xbf68dda4, v52
	v_add_f32_e32 v48, v49, v48
	v_fma_f32 v49, v106, s2, -v119
	v_mul_f32_e32 v120, 0xbf4178ce, v93
	v_add_f32_e32 v49, v41, v49
	v_fma_f32 v50, v108, s15, -v120
	v_mul_f32_e32 v115, 0x3e903f40, v149
	v_add_f32_e32 v49, v50, v49
	v_mov_b32_e32 v50, v115
	v_fmac_f32_e32 v50, 0xbf75a155, v111
	v_mul_f32_e32 v122, 0x3e903f40, v150
	v_add_f32_e32 v48, v50, v48
	v_fma_f32 v50, v112, s16, -v122
	v_mul_f32_e32 v118, 0x3f7d64f0, v155
	v_add_f32_e32 v49, v50, v49
	v_mov_b32_e32 v50, v118
	v_fmac_f32_e32 v50, 0xbe11bafb, v116
	;; [unrolled: 7-line block ×3, first 2 shown]
	v_mul_f32_e32 v124, 0x3f0a6770, v156
	v_mul_f32_e32 v125, 0xbf7d64f0, v53
	v_fma_f32 v51, v128, s14, -v124
	v_add_f32_e32 v50, v50, v48
	v_mov_b32_e32 v48, v125
	v_mul_f32_e32 v126, 0x3e903f40, v148
	v_add_f32_e32 v51, v51, v49
	v_fmac_f32_e32 v48, 0xbe11bafb, v105
	v_mov_b32_e32 v49, v126
	v_add_f32_e32 v48, v40, v48
	v_fmac_f32_e32 v49, 0xbf75a155, v107
	v_mul_f32_e32 v129, 0x3f68dda4, v149
	v_add_f32_e32 v48, v49, v48
	v_mov_b32_e32 v49, v129
	v_fmac_f32_e32 v49, 0x3ed4b147, v111
	v_mul_f32_e32 v130, 0xbf0a6770, v155
	v_add_f32_e32 v48, v49, v48
	v_mov_b32_e32 v49, v130
	;; [unrolled: 4-line block ×3, first 2 shown]
	v_fmac_f32_e32 v49, 0xbf27a4f4, v127
	v_mul_f32_e32 v132, 0xbf7d64f0, v52
	v_add_f32_e32 v48, v49, v48
	v_fma_f32 v49, v106, s3, -v132
	v_mul_f32_e32 v133, 0x3e903f40, v93
	v_add_f32_e32 v49, v41, v49
	v_fma_f32 v54, v108, s16, -v133
	;; [unrolled: 3-line block ×5, first 2 shown]
	v_mul_f32_e32 v137, 0xbf4178ce, v53
	v_add_f32_e32 v49, v54, v49
	v_mov_b32_e32 v54, v137
	v_mul_f32_e32 v138, 0x3f7d64f0, v148
	v_fmac_f32_e32 v54, 0xbf27a4f4, v105
	v_mov_b32_e32 v55, v138
	v_add_f32_e32 v54, v40, v54
	v_fmac_f32_e32 v55, 0xbe11bafb, v107
	v_mul_f32_e32 v141, 0xbf4178ce, v52
	v_add_f32_e32 v54, v55, v54
	v_fma_f32 v55, v106, s15, -v141
	v_mul_f32_e32 v142, 0x3f7d64f0, v93
	v_add_f32_e32 v55, v41, v55
	v_fma_f32 v139, v108, s3, -v142
	v_add_f32_e32 v55, v139, v55
	v_mul_f32_e32 v139, 0xbf0a6770, v149
	v_mov_b32_e32 v140, v139
	v_fmac_f32_e32 v140, 0x3f575c64, v111
	v_mul_f32_e32 v144, 0xbf0a6770, v150
	v_add_f32_e32 v54, v140, v54
	v_fma_f32 v140, v112, s14, -v144
	v_add_f32_e32 v55, v140, v55
	v_mul_f32_e32 v140, 0xbe903f40, v155
	v_mov_b32_e32 v143, v140
	v_fmac_f32_e32 v143, 0xbf75a155, v116
	v_mul_f32_e32 v145, 0xbe903f40, v153
	v_add_f32_e32 v54, v143, v54
	v_fma_f32 v143, v117, s16, -v145
	v_add_f32_e32 v55, v143, v55
	v_mul_f32_e32 v143, 0x3f68dda4, v157
	v_mov_b32_e32 v147, v143
	v_fmac_f32_e32 v147, 0x3ed4b147, v127
	v_mul_f32_e32 v146, 0x3f68dda4, v156
	v_add_f32_e32 v54, v147, v54
	v_mul_f32_e32 v147, 0xbe903f40, v53
	v_fma_f32 v151, v128, s2, -v146
	v_mov_b32_e32 v53, v147
	v_mul_f32_e32 v148, 0x3f0a6770, v148
	v_add_f32_e32 v55, v151, v55
	v_fmac_f32_e32 v53, 0xbf75a155, v105
	v_mov_b32_e32 v151, v148
	v_add_f32_e32 v53, v40, v53
	v_fmac_f32_e32 v151, 0x3f575c64, v107
	v_add_f32_e32 v53, v151, v53
	v_mul_f32_e32 v151, 0xbe903f40, v52
	v_fma_f32 v52, v106, s16, -v151
	v_mul_f32_e32 v152, 0x3f0a6770, v93
	v_add_f32_e32 v52, v41, v52
	v_fma_f32 v93, v108, s14, -v152
	v_mul_f32_e32 v149, 0xbf4178ce, v149
	v_add_f32_e32 v52, v93, v52
	v_mov_b32_e32 v93, v149
	v_fmac_f32_e32 v93, 0xbf27a4f4, v111
	v_mul_f32_e32 v154, 0xbf4178ce, v150
	v_add_f32_e32 v53, v93, v53
	v_fma_f32 v93, v112, s15, -v154
	v_mul_f32_e32 v150, 0x3f68dda4, v155
	v_add_f32_e32 v52, v93, v52
	v_mov_b32_e32 v93, v150
	v_fmac_f32_e32 v93, 0x3ed4b147, v116
	v_mul_f32_e32 v155, 0x3f68dda4, v153
	v_add_f32_e32 v53, v93, v53
	v_fma_f32 v93, v117, s2, -v155
	v_mul_f32_e32 v153, 0xbf7d64f0, v157
	v_add_f32_e32 v93, v93, v52
	v_mov_b32_e32 v52, v153
	v_mul_f32_e32 v156, 0xbf7d64f0, v156
	v_fmac_f32_e32 v52, 0xbe11bafb, v127
	v_add_f32_e32 v52, v52, v53
	v_fma_f32 v53, v128, s3, -v156
	v_add_f32_e32 v53, v53, v93
	v_add_u32_e32 v93, 0x1ce0, v88
	s_and_saveexec_b64 s[2:3], s[0:1]
	s_cbranch_execz .LBB0_9
; %bb.8:
	v_mul_f32_e32 v157, 0x3f575c64, v105
	v_mul_f32_e32 v159, 0x3ed4b147, v105
	;; [unrolled: 1-line block ×15, first 2 shown]
	v_sub_f32_e32 v105, v105, v147
	v_mul_f32_e32 v166, 0x3ed4b147, v108
	v_mul_f32_e32 v168, 0xbf27a4f4, v108
	;; [unrolled: 1-line block ×10, first 2 shown]
	v_add_f32_e32 v106, v151, v106
	v_add_f32_e32 v105, v40, v105
	v_sub_f32_e32 v107, v107, v148
	v_mul_f32_e32 v174, 0xbe11bafb, v112
	v_mul_f32_e32 v176, 0xbf75a155, v112
	;; [unrolled: 1-line block ×10, first 2 shown]
	v_add_f32_e32 v106, v41, v106
	v_add_f32_e32 v108, v152, v108
	v_add_f32_e32 v105, v107, v105
	v_sub_f32_e32 v107, v111, v149
	v_mul_f32_e32 v182, 0xbf27a4f4, v117
	v_mul_f32_e32 v184, 0xbe11bafb, v117
	;; [unrolled: 1-line block ×10, first 2 shown]
	v_add_f32_e32 v106, v108, v106
	v_add_f32_e32 v108, v154, v112
	;; [unrolled: 1-line block ×3, first 2 shown]
	v_sub_f32_e32 v107, v116, v150
	v_mul_f32_e32 v190, 0xbf75a155, v128
	v_mul_f32_e32 v192, 0x3f575c64, v128
	;; [unrolled: 1-line block ×5, first 2 shown]
	v_add_f32_e32 v106, v108, v106
	v_add_f32_e32 v108, v155, v117
	;; [unrolled: 1-line block ×3, first 2 shown]
	v_sub_f32_e32 v107, v127, v153
	v_add_f32_e32 v106, v108, v106
	v_add_f32_e32 v108, v156, v128
	;; [unrolled: 1-line block ×14, first 2 shown]
	v_sub_f32_e32 v107, v163, v137
	v_add_f32_e32 v107, v40, v107
	v_sub_f32_e32 v111, v171, v138
	v_add_f32_e32 v107, v111, v107
	;; [unrolled: 2-line block ×5, first 2 shown]
	v_add_f32_e32 v111, v132, v162
	v_add_f32_e32 v111, v41, v111
	;; [unrolled: 1-line block ×10, first 2 shown]
	v_sub_f32_e32 v111, v161, v125
	v_add_f32_e32 v111, v40, v111
	v_sub_f32_e32 v116, v169, v126
	v_add_f32_e32 v111, v116, v111
	;; [unrolled: 2-line block ×5, first 2 shown]
	v_add_f32_e32 v116, v119, v160
	v_sub_f32_e32 v113, v159, v113
	v_add_f32_e32 v61, v61, v158
	v_sub_f32_e32 v57, v157, v57
	v_add_f32_e32 v116, v41, v116
	v_add_f32_e32 v113, v40, v113
	;; [unrolled: 1-line block ×15, first 2 shown]
	v_sub_f32_e32 v58, v165, v58
	v_add_f32_e32 v41, v41, v94
	v_add_f32_e32 v40, v40, v44
	v_add_f32_e32 v117, v120, v168
	v_sub_f32_e32 v114, v167, v114
	v_add_f32_e32 v61, v102, v61
	v_add_f32_e32 v102, v103, v174
	v_add_f32_e32 v57, v58, v57
	;; [unrolled: 4-line block ×3, first 2 shown]
	v_add_f32_e32 v117, v122, v176
	v_add_f32_e32 v113, v114, v113
	v_sub_f32_e32 v114, v175, v115
	v_add_f32_e32 v61, v102, v61
	v_add_f32_e32 v102, v104, v182
	;; [unrolled: 1-line block ×3, first 2 shown]
	v_sub_f32_e32 v58, v181, v60
	v_add_f32_e32 v41, v41, v96
	v_add_f32_e32 v40, v40, v46
	;; [unrolled: 1-line block ×5, first 2 shown]
	v_sub_f32_e32 v114, v183, v118
	v_add_f32_e32 v61, v102, v61
	v_add_f32_e32 v102, v110, v190
	v_add_f32_e32 v57, v58, v57
	v_sub_f32_e32 v58, v189, v109
	v_add_f32_e32 v41, v41, v97
	v_add_f32_e32 v40, v40, v47
	v_mul_u32_u24_e32 v42, 0x1ce, v85
	v_add_f32_e32 v116, v117, v116
	v_add_f32_e32 v117, v124, v192
	;; [unrolled: 1-line block ×3, first 2 shown]
	v_sub_f32_e32 v114, v191, v121
	v_add_f32_e32 v61, v102, v61
	v_add_f32_e32 v60, v58, v57
	;; [unrolled: 1-line block ×4, first 2 shown]
	v_add_lshl_u32 v42, v42, v86, 3
	v_add_f32_e32 v116, v117, v116
	v_add_f32_e32 v115, v114, v113
	ds_write2_b64 v42, v[40:41], v[60:61] offset1:42
	ds_write2_b64 v42, v[115:116], v[111:112] offset0:84 offset1:126
	ds_write2_b64 v42, v[107:108], v[105:106] offset0:168 offset1:210
	v_add_u32_e32 v40, 0x400, v42
	ds_write2_b64 v40, v[52:53], v[54:55] offset0:124 offset1:166
	v_add_u32_e32 v40, 0x800, v42
	ds_write2_b64 v40, v[48:49], v[50:51] offset0:80 offset1:122
	ds_write_b64 v42, v[81:82] offset:3360
.LBB0_9:
	s_or_b64 exec, exec, s[2:3]
	v_lshlrev_b32_e32 v56, 3, v62
	s_waitcnt lgkmcnt(0)
	s_barrier
	global_load_dwordx4 v[40:43], v56, s[10:11] offset:3680
	global_load_dwordx4 v[44:47], v89, s[10:11] offset:3680
	v_lshlrev_b32_e32 v60, 3, v83
	v_mov_b32_e32 v61, s9
	v_add_u32_e32 v104, 0xe00, v84
	v_add_co_u32_e64 v96, s[2:3], s8, v60
	ds_read2_b64 v[56:59], v84 offset1:231
	v_add_u32_e32 v105, 0x1c80, v84
	v_addc_co_u32_e64 v97, s[2:3], 0, v61, s[2:3]
	ds_read2_b64 v[60:63], v104 offset0:14 offset1:245
	ds_read2_b64 v[64:67], v105 offset0:12 offset1:243
	s_movk_i32 s10, 0x2000
	v_add_co_u32_e64 v94, s[2:3], s10, v96
	v_addc_co_u32_e64 v95, s[2:3], 0, v97, s[2:3]
	s_movk_i32 s9, 0x2b50
	s_waitcnt vmcnt(1) lgkmcnt(1)
	v_mul_f32_e32 v98, v61, v41
	v_mul_f32_e32 v99, v60, v41
	s_waitcnt lgkmcnt(0)
	v_mul_f32_e32 v100, v65, v43
	v_mul_f32_e32 v101, v64, v43
	s_waitcnt vmcnt(0)
	v_mul_f32_e32 v102, v63, v45
	v_mul_f32_e32 v103, v62, v45
	;; [unrolled: 1-line block ×4, first 2 shown]
	v_fma_f32 v60, v60, v40, -v98
	v_fmac_f32_e32 v99, v61, v40
	v_fma_f32 v61, v64, v42, -v100
	v_fmac_f32_e32 v101, v65, v42
	;; [unrolled: 2-line block ×4, first 2 shown]
	v_add_f32_e32 v65, v60, v61
	v_add_f32_e32 v67, v99, v101
	;; [unrolled: 1-line block ×3, first 2 shown]
	v_sub_f32_e32 v106, v103, v107
	v_add_f32_e32 v108, v59, v103
	v_add_f32_e32 v103, v103, v107
	v_add_f32_e32 v64, v56, v60
	v_sub_f32_e32 v98, v99, v101
	v_add_f32_e32 v66, v57, v99
	v_sub_f32_e32 v99, v60, v61
	v_add_f32_e32 v100, v58, v62
	v_fma_f32 v56, -0.5, v65, v56
	v_fma_f32 v57, -0.5, v67, v57
	;; [unrolled: 1-line block ×3, first 2 shown]
	v_fmac_f32_e32 v59, -0.5, v103
	v_sub_f32_e32 v109, v62, v63
	v_add_f32_e32 v60, v64, v61
	v_add_f32_e32 v61, v66, v101
	v_mov_b32_e32 v64, v56
	v_fmac_f32_e32 v56, 0xbf5db3d7, v98
	v_mov_b32_e32 v65, v57
	v_fmac_f32_e32 v57, 0x3f5db3d7, v99
	v_mov_b32_e32 v66, v58
	v_mov_b32_e32 v67, v59
	v_add_f32_e32 v62, v100, v63
	v_add_f32_e32 v63, v108, v107
	v_fmac_f32_e32 v58, 0xbf5db3d7, v106
	v_fmac_f32_e32 v59, 0x3f5db3d7, v109
	;; [unrolled: 1-line block ×6, first 2 shown]
	ds_write_b64 v84, v[56:57] offset:7392
	ds_write_b64 v84, v[64:65] offset:3696
	ds_write2_b64 v84, v[60:61], v[62:63] offset1:231
	ds_write_b64 v84, v[66:67] offset:5544
	ds_write_b64 v84, v[58:59] offset:9240
	s_waitcnt lgkmcnt(0)
	s_barrier
	global_load_dwordx2 v[60:61], v[94:95], off offset:2896
	v_add_co_u32_e64 v56, s[2:3], s9, v96
	v_addc_co_u32_e64 v57, s[2:3], 0, v97, s[2:3]
	s_movk_i32 s2, 0x4000
	v_add_co_u32_e64 v58, s[2:3], s2, v96
	global_load_dwordx2 v[94:95], v[56:57], off offset:1848
	v_addc_co_u32_e64 v59, s[2:3], 0, v97, s[2:3]
	global_load_dwordx2 v[96:97], v[58:59], off offset:248
	global_load_dwordx2 v[98:99], v[58:59], off offset:2096
	;; [unrolled: 1-line block ×4, first 2 shown]
	ds_read2_b64 v[56:59], v84 offset1:231
	v_add_u32_e32 v106, 0x1500, v84
	v_add_u32_e32 v107, 0x700, v84
	s_waitcnt vmcnt(5) lgkmcnt(0)
	v_mul_f32_e32 v63, v57, v61
	v_mul_f32_e32 v62, v56, v61
	v_fma_f32 v61, v56, v60, -v63
	v_fmac_f32_e32 v62, v57, v60
	ds_write_b64 v84, v[61:62]
	ds_read2_b64 v[60:63], v104 offset0:14 offset1:245
	ds_read2_b64 v[64:67], v105 offset0:12 offset1:243
	s_waitcnt vmcnt(4)
	v_mul_f32_e32 v108, v59, v95
	v_mul_f32_e32 v57, v58, v95
	v_fma_f32 v56, v58, v94, -v108
	v_fmac_f32_e32 v57, v59, v94
	s_waitcnt vmcnt(3) lgkmcnt(1)
	v_mul_f32_e32 v58, v63, v97
	v_mul_f32_e32 v59, v62, v97
	s_waitcnt vmcnt(2) lgkmcnt(0)
	v_mul_f32_e32 v94, v65, v99
	v_mul_f32_e32 v95, v64, v99
	s_waitcnt vmcnt(1)
	v_mul_f32_e32 v108, v61, v101
	v_mul_f32_e32 v97, v60, v101
	s_waitcnt vmcnt(0)
	v_mul_f32_e32 v101, v67, v103
	v_mul_f32_e32 v99, v66, v103
	v_fma_f32 v58, v62, v96, -v58
	v_fmac_f32_e32 v59, v63, v96
	v_fma_f32 v94, v64, v98, -v94
	v_fmac_f32_e32 v95, v65, v98
	;; [unrolled: 2-line block ×4, first 2 shown]
	ds_write2_b64 v106, v[58:59], v[94:95] offset0:21 offset1:252
	ds_write2_b64 v107, v[56:57], v[96:97] offset0:7 offset1:238
	ds_write_b64 v84, v[98:99] offset:9240
	s_waitcnt lgkmcnt(0)
	s_barrier
	ds_read2_b64 v[94:97], v84 offset1:231
	ds_read2_b64 v[60:63], v104 offset0:14 offset1:245
	ds_read2_b64 v[98:101], v105 offset0:12 offset1:243
	s_waitcnt lgkmcnt(0)
	s_barrier
	v_sub_f32_e32 v58, v94, v62
	v_sub_f32_e32 v59, v95, v63
	;; [unrolled: 1-line block ×6, first 2 shown]
	v_fma_f32 v56, v94, 2.0, -v58
	v_fma_f32 v57, v95, 2.0, -v59
	;; [unrolled: 1-line block ×6, first 2 shown]
	ds_write_b128 v88, v[56:59]
	ds_write_b128 v89, v[64:67]
	;; [unrolled: 1-line block ×3, first 2 shown]
	s_waitcnt lgkmcnt(0)
	s_barrier
	s_and_saveexec_b64 s[2:3], vcc
	s_cbranch_execz .LBB0_11
; %bb.10:
	v_add_u32_e32 v52, 0xc00, v84
	ds_read2_b64 v[64:67], v52 offset0:12 offset1:210
	v_add_u32_e32 v52, 0x1800, v84
	ds_read2_b64 v[56:59], v84 offset1:198
	ds_read2_b64 v[60:63], v52 offset0:24 offset1:222
	ds_read_b64 v[52:53], v84 offset:9504
.LBB0_11:
	s_or_b64 exec, exec, s[2:3]
	s_waitcnt lgkmcnt(2)
	v_mul_f32_e32 v88, v9, v59
	v_mul_f32_e32 v9, v9, v58
	v_fmac_f32_e32 v88, v8, v58
	v_fma_f32 v9, v8, v59, -v9
	v_mul_f32_e32 v58, v11, v65
	v_mul_f32_e32 v8, v11, v64
	;; [unrolled: 1-line block ×4, first 2 shown]
	v_fma_f32 v59, v4, v67, -v5
	s_waitcnt lgkmcnt(1)
	v_mul_f32_e32 v5, v1, v63
	v_mul_f32_e32 v1, v1, v62
	v_fmac_f32_e32 v5, v0, v62
	v_fma_f32 v0, v0, v63, -v1
	s_waitcnt lgkmcnt(0)
	v_mul_f32_e32 v1, v3, v53
	v_mul_f32_e32 v3, v3, v52
	v_fmac_f32_e32 v58, v10, v64
	v_fma_f32 v10, v10, v65, -v8
	v_fmac_f32_e32 v11, v4, v66
	v_mul_f32_e32 v64, v7, v61
	v_mul_f32_e32 v4, v7, v60
	v_fmac_f32_e32 v1, v2, v52
	v_fma_f32 v3, v2, v53, -v3
	v_fmac_f32_e32 v64, v6, v60
	v_fma_f32 v60, v6, v61, -v4
	v_add_f32_e32 v2, v1, v88
	v_add_f32_e32 v6, v3, v9
	;; [unrolled: 1-line block ×4, first 2 shown]
	v_sub_f32_e32 v8, v88, v1
	v_sub_f32_e32 v3, v9, v3
	;; [unrolled: 1-line block ×4, first 2 shown]
	v_add_f32_e32 v0, v64, v11
	v_add_f32_e32 v1, v60, v59
	;; [unrolled: 1-line block ×4, first 2 shown]
	v_sub_f32_e32 v10, v64, v11
	v_sub_f32_e32 v11, v60, v59
	v_add_f32_e32 v52, v0, v52
	v_add_f32_e32 v53, v1, v53
	v_sub_f32_e32 v58, v2, v0
	v_sub_f32_e32 v59, v6, v1
	;; [unrolled: 1-line block ×4, first 2 shown]
	v_add_f32_e32 v60, v10, v9
	v_add_f32_e32 v61, v11, v5
	v_sub_f32_e32 v64, v10, v9
	v_sub_f32_e32 v65, v11, v5
	;; [unrolled: 1-line block ×4, first 2 shown]
	v_add_f32_e32 v0, v56, v52
	v_add_f32_e32 v1, v57, v53
	;; [unrolled: 1-line block ×4, first 2 shown]
	v_mul_f32_e32 v60, 0x3f4a47b2, v58
	v_mul_f32_e32 v66, 0x3f4a47b2, v59
	;; [unrolled: 1-line block ×4, first 2 shown]
	v_mov_b32_e32 v10, v0
	v_mov_b32_e32 v59, v1
	v_fmac_f32_e32 v10, 0xbf955555, v52
	v_fmac_f32_e32 v59, 0xbf955555, v53
	v_mov_b32_e32 v52, v60
	v_mov_b32_e32 v53, v66
	;; [unrolled: 1-line block ×4, first 2 shown]
	v_fmac_f32_e32 v52, 0x3d64c772, v62
	v_fmac_f32_e32 v53, 0x3d64c772, v63
	;; [unrolled: 1-line block ×4, first 2 shown]
	v_add_f32_e32 v57, v52, v10
	v_add_f32_e32 v58, v53, v59
	v_fmac_f32_e32 v11, 0xbee1c552, v88
	v_fmac_f32_e32 v56, 0xbee1c552, v89
	v_sub_f32_e32 v52, v57, v56
	v_add_f32_e32 v53, v11, v58
	s_barrier
	s_and_saveexec_b64 s[2:3], vcc
	s_cbranch_execz .LBB0_13
; %bb.12:
	s_mov_b32 s9, 0xbf3bfb3b
	v_sub_f32_e32 v2, v4, v2
	v_sub_f32_e32 v8, v9, v8
	s_mov_b32 s8, 0x3f5ff5aa
	v_fma_f32 v4, v2, s9, -v60
	v_sub_f32_e32 v60, v5, v3
	v_mul_f32_e32 v63, 0x3d64c772, v63
	v_mul_f32_e32 v89, 0xbee1c552, v89
	v_fma_f32 v9, v8, s8, -v67
	v_sub_f32_e32 v7, v7, v6
	v_fma_f32 v3, v60, s8, -v61
	s_mov_b32 s8, 0x3f3bfb3b
	v_mul_f32_e32 v62, 0x3d64c772, v62
	v_mul_f32_e32 v64, 0x3f08b237, v64
	;; [unrolled: 1-line block ×3, first 2 shown]
	v_fma_f32 v6, v7, s9, -v66
	v_add_f32_e32 v61, v89, v3
	v_fma_f32 v3, v7, s8, -v63
	s_mov_b32 s9, 0xbf5ff5aa
	v_mul_f32_e32 v88, 0xbee1c552, v88
	v_add_f32_e32 v66, v6, v59
	v_add_f32_e32 v7, v3, v59
	v_fma_f32 v3, v8, s9, -v64
	v_fma_f32 v59, v60, s9, -v65
	;; [unrolled: 1-line block ×3, first 2 shown]
	v_add_f32_e32 v9, v88, v9
	v_add_f32_e32 v4, v4, v10
	;; [unrolled: 1-line block ×6, first 2 shown]
	v_sub_f32_e32 v5, v4, v61
	v_sub_f32_e32 v3, v7, v8
	v_add_f32_e32 v2, v59, v10
	v_add_f32_e32 v8, v8, v7
	v_sub_f32_e32 v7, v10, v59
	v_sub_f32_e32 v10, v66, v9
	v_add_f32_e32 v9, v61, v4
	v_mul_u32_u24_e32 v4, 14, v90
	v_or_b32_e32 v4, v4, v87
	v_sub_f32_e32 v58, v58, v11
	v_add_f32_e32 v57, v56, v57
	v_lshlrev_b32_e32 v4, 3, v4
	ds_write2_b64 v4, v[0:1], v[57:58] offset1:2
	ds_write2_b64 v4, v[9:10], v[7:8] offset0:4 offset1:6
	ds_write2_b64 v4, v[2:3], v[5:6] offset0:8 offset1:10
	ds_write_b64 v4, v[52:53] offset:96
.LBB0_13:
	s_or_b64 exec, exec, s[2:3]
	v_add_u32_e32 v0, 0xe00, v84
	v_add_u32_e32 v8, 0x1c80, v84
	s_waitcnt lgkmcnt(0)
	s_barrier
	ds_read2_b64 v[0:3], v0 offset0:14 offset1:245
	ds_read2_b64 v[4:7], v84 offset1:231
	ds_read2_b64 v[8:11], v8 offset0:12 offset1:243
	s_waitcnt lgkmcnt(0)
	s_barrier
	v_mul_f32_e32 v56, v13, v1
	v_fmac_f32_e32 v56, v12, v0
	v_mul_f32_e32 v0, v13, v0
	v_mul_f32_e32 v13, v15, v9
	v_fmac_f32_e32 v13, v14, v8
	v_fma_f32 v12, v12, v1, -v0
	v_mul_f32_e32 v0, v15, v8
	v_add_f32_e32 v1, v56, v13
	v_fma_f32 v9, v14, v9, -v0
	v_mul_f32_e32 v14, v17, v3
	v_fma_f32 v8, -0.5, v1, v4
	v_fmac_f32_e32 v14, v16, v2
	v_mul_f32_e32 v0, v17, v2
	v_sub_f32_e32 v1, v12, v9
	v_mov_b32_e32 v2, v8
	v_fma_f32 v15, v16, v3, -v0
	v_fmac_f32_e32 v2, 0xbf5db3d7, v1
	v_fmac_f32_e32 v8, 0x3f5db3d7, v1
	v_add_f32_e32 v1, v5, v12
	v_add_f32_e32 v3, v12, v9
	v_mul_f32_e32 v0, v19, v10
	v_add_f32_e32 v1, v1, v9
	v_fma_f32 v9, -0.5, v3, v5
	v_mul_f32_e32 v16, v19, v11
	v_fma_f32 v17, v18, v11, -v0
	v_add_f32_e32 v0, v4, v56
	v_sub_f32_e32 v4, v56, v13
	v_mov_b32_e32 v3, v9
	v_fmac_f32_e32 v16, v18, v10
	v_fmac_f32_e32 v3, 0x3f5db3d7, v4
	;; [unrolled: 1-line block ×3, first 2 shown]
	v_add_f32_e32 v4, v6, v14
	v_add_f32_e32 v10, v4, v16
	;; [unrolled: 1-line block ×3, first 2 shown]
	v_fma_f32 v6, -0.5, v4, v6
	v_sub_f32_e32 v5, v15, v17
	v_mov_b32_e32 v4, v6
	v_fmac_f32_e32 v4, 0xbf5db3d7, v5
	v_fmac_f32_e32 v6, 0x3f5db3d7, v5
	v_add_f32_e32 v5, v7, v15
	v_add_f32_e32 v11, v5, v17
	;; [unrolled: 1-line block ×3, first 2 shown]
	v_fmac_f32_e32 v7, -0.5, v5
	v_sub_f32_e32 v12, v14, v16
	v_mov_b32_e32 v5, v7
	v_add_f32_e32 v0, v0, v13
	v_fmac_f32_e32 v5, 0x3f5db3d7, v12
	v_fmac_f32_e32 v7, 0xbf5db3d7, v12
	ds_write2_b64 v92, v[0:1], v[2:3] offset1:14
	ds_write_b64 v92, v[8:9] offset:224
	ds_write2_b64 v91, v[10:11], v[4:5] offset1:14
	ds_write_b64 v91, v[6:7] offset:224
	s_waitcnt lgkmcnt(0)
	s_barrier
	s_and_saveexec_b64 s[2:3], s[0:1]
	s_cbranch_execz .LBB0_15
; %bb.14:
	v_add_u32_e32 v4, 0x400, v84
	v_add_u32_e32 v12, 0x1400, v84
	ds_read2_b64 v[8:11], v4 offset0:124 offset1:250
	v_add_u32_e32 v4, 0xc00, v84
	ds_read2_b64 v[52:55], v12 offset0:116 offset1:242
	v_add_u32_e32 v12, 0x1c00, v84
	ds_read2_b64 v[0:3], v84 offset1:126
	ds_read2_b64 v[4:7], v4 offset0:120 offset1:246
	ds_read2_b64 v[48:51], v12 offset0:112 offset1:238
	ds_read_b64 v[81:82], v84 offset:10080
.LBB0_15:
	s_or_b64 exec, exec, s[2:3]
	s_waitcnt lgkmcnt(0)
	s_barrier
	s_and_saveexec_b64 s[2:3], s[0:1]
	s_cbranch_execz .LBB0_17
; %bb.16:
	v_mul_f32_e32 v13, v33, v2
	v_mul_f32_e32 v12, v39, v81
	v_fma_f32 v13, v32, v3, -v13
	v_mul_f32_e32 v16, v33, v3
	v_mul_f32_e32 v3, v37, v50
	v_fma_f32 v12, v38, v82, -v12
	v_fma_f32 v18, v36, v51, -v3
	v_mul_f32_e32 v3, v35, v8
	v_add_f32_e32 v14, v12, v13
	v_mul_f32_e32 v17, v39, v82
	v_fma_f32 v19, v34, v9, -v3
	v_mul_f32_e32 v35, v35, v9
	v_mul_f32_e32 v15, 0xbf75a155, v14
	v_fmac_f32_e32 v16, v32, v2
	v_fmac_f32_e32 v17, v38, v81
	v_add_f32_e32 v33, v18, v19
	v_fmac_f32_e32 v35, v34, v8
	v_mul_f32_e32 v34, v37, v51
	v_sub_f32_e32 v32, v16, v17
	v_mov_b32_e32 v2, v15
	v_mul_f32_e32 v38, 0x3f575c64, v33
	v_fmac_f32_e32 v34, v36, v50
	v_fmac_f32_e32 v2, 0x3e903f40, v32
	v_sub_f32_e32 v36, v35, v34
	v_mov_b32_e32 v3, v38
	v_add_f32_e32 v2, v1, v2
	v_fmac_f32_e32 v3, 0xbf0a6770, v36
	v_add_f32_e32 v2, v3, v2
	v_mul_f32_e32 v3, v27, v48
	v_fma_f32 v37, v26, v49, -v3
	v_mul_f32_e32 v3, v29, v10
	v_fma_f32 v39, v28, v11, -v3
	v_add_f32_e32 v50, v37, v39
	v_mul_f32_e32 v29, v29, v11
	v_mul_f32_e32 v27, v27, v49
	;; [unrolled: 1-line block ×3, first 2 shown]
	v_fmac_f32_e32 v29, v28, v10
	v_fmac_f32_e32 v27, v26, v48
	v_sub_f32_e32 v26, v29, v27
	v_mov_b32_e32 v3, v51
	v_fmac_f32_e32 v3, 0x3f4178ce, v26
	v_add_f32_e32 v2, v3, v2
	v_mul_f32_e32 v3, v25, v54
	v_fma_f32 v28, v24, v55, -v3
	v_mul_f32_e32 v3, v31, v4
	v_fma_f32 v48, v30, v5, -v3
	v_add_f32_e32 v10, v28, v48
	v_mul_f32_e32 v31, v31, v5
	v_mul_f32_e32 v25, v25, v55
	;; [unrolled: 1-line block ×3, first 2 shown]
	v_fmac_f32_e32 v31, v30, v4
	v_fmac_f32_e32 v25, v24, v54
	v_sub_f32_e32 v24, v31, v25
	v_mov_b32_e32 v3, v49
	v_fmac_f32_e32 v3, 0xbf68dda4, v24
	v_add_f32_e32 v2, v3, v2
	v_mul_f32_e32 v3, v23, v52
	v_fma_f32 v30, v22, v53, -v3
	v_mul_f32_e32 v3, v21, v6
	v_fma_f32 v54, v20, v7, -v3
	v_mul_f32_e32 v21, v21, v7
	v_add_f32_e32 v11, v30, v54
	v_fmac_f32_e32 v21, v20, v6
	v_mul_f32_e32 v20, v23, v53
	v_mul_f32_e32 v55, 0xbe11bafb, v11
	v_fmac_f32_e32 v20, v22, v52
	v_sub_f32_e32 v22, v21, v20
	v_mov_b32_e32 v3, v55
	v_sub_f32_e32 v52, v13, v12
	v_fmac_f32_e32 v3, 0x3f7d64f0, v22
	v_mul_f32_e32 v53, 0xbe903f40, v52
	v_sub_f32_e32 v57, v19, v18
	v_add_f32_e32 v3, v3, v2
	v_add_f32_e32 v23, v17, v16
	v_mov_b32_e32 v2, v53
	v_mul_f32_e32 v58, 0x3f0a6770, v57
	v_fmac_f32_e32 v2, 0xbf75a155, v23
	v_add_f32_e32 v56, v34, v35
	v_mov_b32_e32 v4, v58
	v_sub_f32_e32 v60, v39, v37
	v_add_f32_e32 v2, v0, v2
	v_fmac_f32_e32 v4, 0x3f575c64, v56
	v_mul_f32_e32 v61, 0xbf4178ce, v60
	v_add_f32_e32 v2, v4, v2
	v_add_f32_e32 v59, v27, v29
	v_mov_b32_e32 v4, v61
	v_sub_f32_e32 v63, v48, v28
	v_fmac_f32_e32 v4, 0xbf27a4f4, v59
	v_mul_f32_e32 v64, 0x3f68dda4, v63
	v_add_f32_e32 v2, v4, v2
	v_add_f32_e32 v62, v25, v31
	v_mov_b32_e32 v4, v64
	v_sub_f32_e32 v66, v54, v30
	v_fmac_f32_e32 v4, 0x3ed4b147, v62
	v_mul_f32_e32 v67, 0xbf7d64f0, v66
	v_add_f32_e32 v2, v4, v2
	v_add_f32_e32 v65, v20, v21
	v_mov_b32_e32 v4, v67
	v_fmac_f32_e32 v4, 0xbe11bafb, v65
	v_mul_f32_e32 v81, 0xbf27a4f4, v14
	v_add_f32_e32 v2, v4, v2
	v_mov_b32_e32 v4, v81
	v_mul_f32_e32 v82, 0xbe11bafb, v33
	v_fmac_f32_e32 v4, 0x3f4178ce, v32
	v_mov_b32_e32 v5, v82
	v_add_f32_e32 v4, v1, v4
	v_fmac_f32_e32 v5, 0xbf7d64f0, v36
	v_mul_f32_e32 v87, 0x3f575c64, v50
	v_add_f32_e32 v4, v5, v4
	v_mov_b32_e32 v5, v87
	v_fmac_f32_e32 v5, 0x3f0a6770, v26
	v_mul_f32_e32 v88, 0xbf75a155, v10
	v_add_f32_e32 v4, v5, v4
	v_mov_b32_e32 v5, v88
	v_fmac_f32_e32 v5, 0x3e903f40, v24
	v_mul_f32_e32 v89, 0x3ed4b147, v11
	v_add_f32_e32 v4, v5, v4
	v_mov_b32_e32 v5, v89
	v_fmac_f32_e32 v5, 0xbf68dda4, v22
	v_mul_f32_e32 v90, 0xbf4178ce, v52
	v_add_f32_e32 v5, v5, v4
	v_mov_b32_e32 v4, v90
	v_mul_f32_e32 v91, 0x3f7d64f0, v57
	v_fmac_f32_e32 v4, 0xbf27a4f4, v23
	v_mov_b32_e32 v6, v91
	v_add_f32_e32 v4, v0, v4
	v_fmac_f32_e32 v6, 0xbe11bafb, v56
	v_mul_f32_e32 v92, 0xbf0a6770, v60
	v_add_f32_e32 v4, v6, v4
	v_mov_b32_e32 v6, v92
	v_fmac_f32_e32 v6, 0x3f575c64, v59
	v_mul_f32_e32 v93, 0xbe903f40, v63
	v_add_f32_e32 v4, v6, v4
	v_mov_b32_e32 v6, v93
	v_fmac_f32_e32 v6, 0xbf75a155, v62
	v_mul_f32_e32 v94, 0x3f68dda4, v66
	;; [unrolled: 20-line block ×5, first 2 shown]
	v_add_f32_e32 v8, v9, v8
	v_mov_b32_e32 v9, v109
	v_fmac_f32_e32 v9, 0xbf0a6770, v22
	v_mul_f32_e32 v110, 0xbf68dda4, v52
	v_add_f32_e32 v9, v9, v8
	v_mov_b32_e32 v8, v110
	v_mul_f32_e32 v111, 0xbf4178ce, v57
	v_fmac_f32_e32 v8, 0x3ed4b147, v23
	v_mov_b32_e32 v112, v111
	v_add_f32_e32 v8, v0, v8
	v_fmac_f32_e32 v112, 0xbf27a4f4, v56
	v_add_f32_e32 v8, v112, v8
	v_mul_f32_e32 v112, 0x3e903f40, v60
	v_mov_b32_e32 v113, v112
	v_fmac_f32_e32 v113, 0xbf75a155, v59
	v_add_f32_e32 v8, v113, v8
	v_mul_f32_e32 v113, 0x3f7d64f0, v63
	v_mov_b32_e32 v114, v113
	v_fmac_f32_e32 v114, 0xbe11bafb, v62
	v_add_f32_e32 v8, v114, v8
	v_mul_f32_e32 v114, 0x3f0a6770, v66
	v_mov_b32_e32 v115, v114
	v_fmac_f32_e32 v115, 0x3f575c64, v65
	v_add_f32_e32 v8, v115, v8
	v_mul_f32_e32 v115, 0x3f575c64, v14
	v_mov_b32_e32 v14, v115
	v_mul_f32_e32 v33, 0x3ed4b147, v33
	v_fmac_f32_e32 v14, 0x3f0a6770, v32
	v_mov_b32_e32 v116, v33
	v_add_f32_e32 v14, v1, v14
	v_fmac_f32_e32 v116, 0x3f68dda4, v36
	v_mul_f32_e32 v50, 0xbe11bafb, v50
	v_add_f32_e32 v14, v116, v14
	v_mov_b32_e32 v116, v50
	v_fmac_f32_e32 v116, 0x3f7d64f0, v26
	v_add_f32_e32 v14, v116, v14
	v_mul_f32_e32 v116, 0xbf27a4f4, v10
	v_mov_b32_e32 v10, v116
	v_mul_f32_e32 v117, 0xbf75a155, v11
	v_fmac_f32_e32 v10, 0x3f4178ce, v24
	v_mov_b32_e32 v11, v117
	v_add_f32_e32 v10, v10, v14
	v_fmac_f32_e32 v11, 0x3e903f40, v22
	v_mul_f32_e32 v52, 0xbf0a6770, v52
	v_add_f32_e32 v11, v11, v10
	v_mov_b32_e32 v10, v52
	v_mul_f32_e32 v57, 0xbf68dda4, v57
	v_fmac_f32_e32 v10, 0x3f575c64, v23
	v_mov_b32_e32 v14, v57
	v_add_f32_e32 v10, v0, v10
	v_fmac_f32_e32 v14, 0x3ed4b147, v56
	v_mul_f32_e32 v60, 0xbf7d64f0, v60
	v_add_f32_e32 v10, v14, v10
	v_mov_b32_e32 v14, v60
	v_fmac_f32_e32 v14, 0xbe11bafb, v59
	v_mul_f32_e32 v63, 0xbf4178ce, v63
	v_add_f32_e32 v13, v13, v1
	v_add_f32_e32 v10, v14, v10
	v_mov_b32_e32 v14, v63
	v_add_f32_e32 v13, v19, v13
	v_fmac_f32_e32 v14, 0xbf27a4f4, v62
	v_mul_f32_e32 v66, 0xbe903f40, v66
	v_add_f32_e32 v13, v39, v13
	v_add_f32_e32 v10, v14, v10
	v_mov_b32_e32 v14, v66
	v_add_f32_e32 v13, v48, v13
	v_fmac_f32_e32 v14, 0xbf75a155, v65
	v_add_f32_e32 v13, v54, v13
	v_fmac_f32_e32 v15, 0xbe903f40, v32
	v_add_f32_e32 v10, v14, v10
	v_add_f32_e32 v13, v30, v13
	;; [unrolled: 1-line block ×3, first 2 shown]
	v_fmac_f32_e32 v38, 0x3f0a6770, v36
	v_add_f32_e32 v13, v28, v13
	v_add_f32_e32 v14, v38, v14
	v_fmac_f32_e32 v51, 0xbf4178ce, v26
	v_add_f32_e32 v13, v37, v13
	v_add_f32_e32 v14, v51, v14
	v_fmac_f32_e32 v49, 0x3f68dda4, v24
	s_mov_b32 s0, 0xbf75a155
	v_add_f32_e32 v13, v18, v13
	v_add_f32_e32 v14, v49, v14
	v_fmac_f32_e32 v55, 0xbf7d64f0, v22
	s_mov_b32 s1, 0x3f575c64
	v_add_f32_e32 v13, v12, v13
	v_add_f32_e32 v12, v0, v16
	;; [unrolled: 1-line block ×3, first 2 shown]
	v_fma_f32 v14, v23, s0, -v53
	s_mov_b32 s8, 0xbf27a4f4
	v_add_f32_e32 v12, v35, v12
	v_add_f32_e32 v14, v0, v14
	v_fma_f32 v16, v56, s1, -v58
	s_mov_b32 s9, 0x3ed4b147
	v_add_f32_e32 v12, v29, v12
	v_add_f32_e32 v14, v16, v14
	;; [unrolled: 4-line block ×3, first 2 shown]
	v_fma_f32 v16, v62, s9, -v64
	v_add_f32_e32 v12, v21, v12
	v_add_f32_e32 v14, v16, v14
	v_fma_f32 v16, v65, s10, -v67
	v_fmac_f32_e32 v81, 0xbf4178ce, v32
	v_add_f32_e32 v12, v20, v12
	v_add_f32_e32 v14, v16, v14
	;; [unrolled: 1-line block ×3, first 2 shown]
	v_fmac_f32_e32 v82, 0x3f7d64f0, v36
	v_add_f32_e32 v12, v25, v12
	v_add_f32_e32 v16, v82, v16
	v_fmac_f32_e32 v87, 0xbf0a6770, v26
	v_add_f32_e32 v12, v27, v12
	v_add_f32_e32 v16, v87, v16
	;; [unrolled: 3-line block ×4, first 2 shown]
	v_fma_f32 v16, v23, s8, -v90
	v_add_f32_e32 v16, v0, v16
	v_fma_f32 v18, v56, s10, -v91
	v_add_f32_e32 v16, v18, v16
	;; [unrolled: 2-line block ×4, first 2 shown]
	v_fma_f32 v18, v65, s9, -v94
	v_fmac_f32_e32 v95, 0xbf7d64f0, v32
	v_add_f32_e32 v16, v18, v16
	v_add_f32_e32 v18, v1, v95
	v_fmac_f32_e32 v96, 0x3e903f40, v36
	v_add_f32_e32 v18, v96, v18
	v_fmac_f32_e32 v97, 0x3f68dda4, v26
	;; [unrolled: 2-line block ×4, first 2 shown]
	v_add_f32_e32 v19, v99, v18
	v_fma_f32 v18, v23, s10, -v100
	v_add_f32_e32 v18, v0, v18
	v_fma_f32 v20, v56, s0, -v101
	;; [unrolled: 2-line block ×5, first 2 shown]
	v_fmac_f32_e32 v105, 0xbf68dda4, v32
	v_add_f32_e32 v18, v20, v18
	v_add_f32_e32 v20, v1, v105
	v_fmac_f32_e32 v106, 0xbf4178ce, v36
	v_add_f32_e32 v20, v106, v20
	v_fmac_f32_e32 v107, 0x3e903f40, v26
	;; [unrolled: 2-line block ×4, first 2 shown]
	v_add_f32_e32 v21, v109, v20
	v_fma_f32 v20, v23, s9, -v110
	v_fmac_f32_e32 v117, 0xbe903f40, v22
	v_fma_f32 v22, v23, s1, -v52
	v_add_f32_e32 v20, v0, v20
	v_add_f32_e32 v0, v0, v22
	v_fma_f32 v22, v56, s9, -v57
	v_add_f32_e32 v0, v22, v0
	v_fma_f32 v22, v59, s10, -v60
	;; [unrolled: 2-line block ×3, first 2 shown]
	v_fma_f32 v25, v56, s8, -v111
	v_fmac_f32_e32 v115, 0xbf0a6770, v32
	v_add_f32_e32 v0, v22, v0
	v_fma_f32 v22, v65, s0, -v66
	v_add_f32_e32 v20, v25, v20
	v_fma_f32 v25, v59, s0, -v112
	v_add_f32_e32 v1, v1, v115
	v_fmac_f32_e32 v33, 0xbf68dda4, v36
	v_add_f32_e32 v0, v22, v0
	v_mul_u32_u24_e32 v22, 0x1ce, v85
	v_add_f32_e32 v20, v25, v20
	v_fma_f32 v25, v62, s10, -v113
	v_add_f32_e32 v1, v33, v1
	v_fmac_f32_e32 v50, 0xbf7d64f0, v26
	v_add_lshl_u32 v22, v22, v86, 3
	v_add_f32_e32 v20, v25, v20
	v_fma_f32 v25, v65, s1, -v114
	v_add_f32_e32 v1, v50, v1
	v_fmac_f32_e32 v116, 0xbf4178ce, v24
	ds_write2_b64 v22, v[12:13], v[10:11] offset1:42
	ds_write2_b64 v22, v[8:9], v[6:7] offset0:84 offset1:126
	ds_write2_b64 v22, v[4:5], v[2:3] offset0:168 offset1:210
	v_add_u32_e32 v2, 0x400, v22
	v_add_f32_e32 v20, v25, v20
	v_add_f32_e32 v1, v116, v1
	ds_write2_b64 v2, v[14:15], v[16:17] offset0:124 offset1:166
	v_add_u32_e32 v2, 0x800, v22
	v_add_f32_e32 v1, v117, v1
	ds_write2_b64 v2, v[18:19], v[20:21] offset0:80 offset1:122
	ds_write_b64 v22, v[0:1] offset:3360
.LBB0_17:
	s_or_b64 exec, exec, s[2:3]
	v_add_u32_e32 v14, 0xe00, v84
	s_waitcnt lgkmcnt(0)
	s_barrier
	ds_read2_b64 v[0:3], v14 offset0:14 offset1:245
	v_add_u32_e32 v15, 0x1c80, v84
	ds_read2_b64 v[8:11], v15 offset0:12 offset1:243
	ds_read2_b64 v[4:7], v84 offset1:231
	v_mad_u64_u32 v[12:13], s[0:1], s6, v68, 0
	s_waitcnt lgkmcnt(2)
	v_mul_f32_e32 v16, v41, v1
	v_fmac_f32_e32 v16, v40, v0
	v_mul_f32_e32 v0, v41, v0
	s_waitcnt lgkmcnt(1)
	v_mul_f32_e32 v18, v43, v9
	v_fma_f32 v17, v40, v1, -v0
	v_fmac_f32_e32 v18, v42, v8
	v_mul_f32_e32 v0, v43, v8
	v_fma_f32 v8, v42, v9, -v0
	v_mul_f32_e32 v19, v45, v3
	v_mul_f32_e32 v0, v45, v2
	v_add_f32_e32 v1, v16, v18
	v_fmac_f32_e32 v19, v44, v2
	v_fma_f32 v20, v44, v3, -v0
	v_mul_f32_e32 v0, v47, v10
	s_waitcnt lgkmcnt(0)
	v_fma_f32 v2, -0.5, v1, v4
	v_mul_f32_e32 v21, v47, v11
	v_fma_f32 v11, v46, v11, -v0
	v_add_f32_e32 v0, v4, v16
	v_sub_f32_e32 v1, v17, v8
	v_mov_b32_e32 v4, v2
	v_add_f32_e32 v3, v17, v8
	v_fmac_f32_e32 v21, v46, v10
	v_fmac_f32_e32 v4, 0xbf5db3d7, v1
	v_fmac_f32_e32 v2, 0x3f5db3d7, v1
	v_add_f32_e32 v1, v5, v17
	v_fma_f32 v3, -0.5, v3, v5
	v_add_f32_e32 v1, v1, v8
	v_sub_f32_e32 v8, v16, v18
	v_mov_b32_e32 v5, v3
	v_add_f32_e32 v9, v19, v21
	v_fmac_f32_e32 v5, 0x3f5db3d7, v8
	v_fmac_f32_e32 v3, 0xbf5db3d7, v8
	v_add_f32_e32 v8, v6, v19
	v_fma_f32 v6, -0.5, v9, v6
	v_sub_f32_e32 v9, v20, v11
	v_mov_b32_e32 v10, v6
	v_fmac_f32_e32 v10, 0xbf5db3d7, v9
	v_fmac_f32_e32 v6, 0x3f5db3d7, v9
	v_add_f32_e32 v9, v7, v20
	v_add_f32_e32 v9, v9, v11
	;; [unrolled: 1-line block ×3, first 2 shown]
	v_fmac_f32_e32 v7, -0.5, v11
	v_add_f32_e32 v0, v0, v18
	v_sub_f32_e32 v16, v19, v21
	v_mov_b32_e32 v11, v7
	v_add_f32_e32 v8, v8, v21
	v_fmac_f32_e32 v11, 0x3f5db3d7, v16
	v_fmac_f32_e32 v7, 0xbf5db3d7, v16
	ds_write_b64 v84, v[4:5] offset:3696
	ds_write_b64 v84, v[2:3] offset:7392
	ds_write2_b64 v84, v[0:1], v[8:9] offset1:231
	ds_write_b64 v84, v[10:11] offset:5544
	ds_write_b64 v84, v[6:7] offset:9240
	s_waitcnt lgkmcnt(0)
	s_barrier
	ds_read2_b64 v[0:3], v84 offset1:231
	v_mov_b32_e32 v4, v13
	v_mad_u64_u32 v[4:5], s[0:1], s7, v68, v[4:5]
	s_mov_b32 s0, 0x5e918c
	s_waitcnt lgkmcnt(0)
	v_mul_f32_e32 v5, v76, v1
	v_fmac_f32_e32 v5, v75, v0
	v_cvt_f64_f32_e32 v[5:6], v5
	s_mov_b32 s1, 0x3f47a463
	v_mul_f32_e32 v0, v76, v0
	v_fma_f32 v0, v75, v1, -v0
	v_mul_f64 v[5:6], v[5:6], s[0:1]
	v_cvt_f64_f32_e32 v[0:1], v0
	v_mad_u64_u32 v[8:9], s[2:3], s4, v83, 0
	v_mov_b32_e32 v13, v4
	v_mul_f64 v[0:1], v[0:1], s[0:1]
	v_mov_b32_e32 v4, v9
	s_mul_i32 s7, s4, 0x15a8
	v_mad_u64_u32 v[9:10], s[2:3], s5, v83, v[4:5]
	v_cvt_f32_f64_e32 v10, v[5:6]
	ds_read2_b64 v[4:7], v14 offset0:14 offset1:245
	v_mov_b32_e32 v14, s13
	v_cvt_f32_f64_e32 v11, v[0:1]
	v_lshlrev_b64 v[0:1], 3, v[12:13]
	v_lshlrev_b64 v[8:9], 3, v[8:9]
	s_waitcnt lgkmcnt(0)
	v_mul_f32_e32 v12, v80, v7
	v_fmac_f32_e32 v12, v79, v6
	v_cvt_f64_f32_e32 v[12:13], v12
	v_add_co_u32_e32 v16, vcc, s12, v0
	v_addc_co_u32_e32 v14, vcc, v14, v1, vcc
	v_mul_f64 v[0:1], v[12:13], s[0:1]
	v_mul_f32_e32 v6, v80, v6
	v_fma_f32 v6, v79, v7, -v6
	v_cvt_f64_f32_e32 v[6:7], v6
	v_add_co_u32_e32 v8, vcc, v16, v8
	v_addc_co_u32_e32 v9, vcc, v14, v9, vcc
	v_mul_f64 v[6:7], v[6:7], s[0:1]
	global_store_dwordx2 v[8:9], v[10:11], off
	v_cvt_f32_f64_e32 v10, v[0:1]
	v_mul_f32_e32 v0, v78, v3
	v_fmac_f32_e32 v0, v77, v2
	v_mul_f32_e32 v2, v78, v2
	v_fma_f32 v2, v77, v3, -v2
	v_cvt_f64_f32_e32 v[0:1], v0
	v_cvt_f64_f32_e32 v[2:3], v2
	v_cvt_f32_f64_e32 v11, v[6:7]
	s_mul_i32 s2, s5, 0x15a8
	v_mul_f64 v[6:7], v[0:1], s[0:1]
	v_mul_f64 v[12:13], v[2:3], s[0:1]
	ds_read2_b64 v[0:3], v15 offset0:12 offset1:243
	s_mul_hi_u32 s3, s4, 0x15a8
	s_add_i32 s6, s3, s2
	v_mov_b32_e32 v14, s6
	v_add_co_u32_e32 v8, vcc, s7, v8
	v_addc_co_u32_e32 v9, vcc, v9, v14, vcc
	global_store_dwordx2 v[8:9], v[10:11], off
	s_waitcnt lgkmcnt(0)
	v_mul_f32_e32 v10, v74, v1
	v_fmac_f32_e32 v10, v73, v0
	v_cvt_f64_f32_e32 v[10:11], v10
	v_mul_f32_e32 v0, v74, v0
	v_fma_f32 v0, v73, v1, -v0
	v_cvt_f64_f32_e32 v[0:1], v0
	v_mul_f64 v[10:11], v[10:11], s[0:1]
	v_cvt_f32_f64_e32 v6, v[6:7]
	v_cvt_f32_f64_e32 v7, v[12:13]
	v_mul_f64 v[0:1], v[0:1], s[0:1]
	v_mov_b32_e32 v16, 0xfffff190
	v_mad_u64_u32 v[8:9], s[2:3], s4, v16, v[8:9]
	s_mul_i32 s2, s5, 0xfffff190
	v_cvt_f32_f64_e32 v10, v[10:11]
	v_mul_f32_e32 v11, v70, v5
	v_fmac_f32_e32 v11, v69, v4
	v_cvt_f64_f32_e32 v[12:13], v11
	v_mul_f32_e32 v4, v70, v4
	v_fma_f32 v4, v69, v5, -v4
	v_cvt_f64_f32_e32 v[4:5], v4
	v_cvt_f32_f64_e32 v11, v[0:1]
	v_mul_f64 v[0:1], v[12:13], s[0:1]
	v_mul_f32_e32 v12, v72, v3
	v_fmac_f32_e32 v12, v71, v2
	v_mul_f32_e32 v2, v72, v2
	v_fma_f32 v2, v71, v3, -v2
	v_mul_f64 v[4:5], v[4:5], s[0:1]
	v_cvt_f64_f32_e32 v[12:13], v12
	v_cvt_f64_f32_e32 v[2:3], v2
	s_sub_i32 s2, s2, s4
	v_add_u32_e32 v9, s2, v9
	v_mul_f64 v[12:13], v[12:13], s[0:1]
	v_mul_f64 v[2:3], v[2:3], s[0:1]
	v_mov_b32_e32 v15, s6
	v_add_co_u32_e32 v14, vcc, s7, v8
	v_addc_co_u32_e32 v15, vcc, v9, v15, vcc
	v_mad_u64_u32 v[16:17], s[0:1], s4, v16, v[14:15]
	v_cvt_f32_f64_e32 v0, v[0:1]
	v_cvt_f32_f64_e32 v1, v[4:5]
	v_add_u32_e32 v17, s2, v17
	global_store_dwordx2 v[8:9], v[6:7], off
	global_store_dwordx2 v[14:15], v[10:11], off
	;; [unrolled: 1-line block ×3, first 2 shown]
	v_cvt_f32_f64_e32 v0, v[12:13]
	v_cvt_f32_f64_e32 v1, v[2:3]
	v_mov_b32_e32 v3, s6
	v_add_co_u32_e32 v2, vcc, s7, v16
	v_addc_co_u32_e32 v3, vcc, v17, v3, vcc
	global_store_dwordx2 v[2:3], v[0:1], off
.LBB0_18:
	s_endpgm
	.section	.rodata,"a",@progbits
	.p2align	6, 0x0
	.amdhsa_kernel bluestein_single_back_len1386_dim1_sp_op_CI_CI
		.amdhsa_group_segment_fixed_size 11088
		.amdhsa_private_segment_fixed_size 0
		.amdhsa_kernarg_size 104
		.amdhsa_user_sgpr_count 6
		.amdhsa_user_sgpr_private_segment_buffer 1
		.amdhsa_user_sgpr_dispatch_ptr 0
		.amdhsa_user_sgpr_queue_ptr 0
		.amdhsa_user_sgpr_kernarg_segment_ptr 1
		.amdhsa_user_sgpr_dispatch_id 0
		.amdhsa_user_sgpr_flat_scratch_init 0
		.amdhsa_user_sgpr_private_segment_size 0
		.amdhsa_uses_dynamic_stack 0
		.amdhsa_system_sgpr_private_segment_wavefront_offset 0
		.amdhsa_system_sgpr_workgroup_id_x 1
		.amdhsa_system_sgpr_workgroup_id_y 0
		.amdhsa_system_sgpr_workgroup_id_z 0
		.amdhsa_system_sgpr_workgroup_info 0
		.amdhsa_system_vgpr_workitem_id 0
		.amdhsa_next_free_vgpr 197
		.amdhsa_next_free_sgpr 20
		.amdhsa_reserve_vcc 1
		.amdhsa_reserve_flat_scratch 0
		.amdhsa_float_round_mode_32 0
		.amdhsa_float_round_mode_16_64 0
		.amdhsa_float_denorm_mode_32 3
		.amdhsa_float_denorm_mode_16_64 3
		.amdhsa_dx10_clamp 1
		.amdhsa_ieee_mode 1
		.amdhsa_fp16_overflow 0
		.amdhsa_exception_fp_ieee_invalid_op 0
		.amdhsa_exception_fp_denorm_src 0
		.amdhsa_exception_fp_ieee_div_zero 0
		.amdhsa_exception_fp_ieee_overflow 0
		.amdhsa_exception_fp_ieee_underflow 0
		.amdhsa_exception_fp_ieee_inexact 0
		.amdhsa_exception_int_div_zero 0
	.end_amdhsa_kernel
	.text
.Lfunc_end0:
	.size	bluestein_single_back_len1386_dim1_sp_op_CI_CI, .Lfunc_end0-bluestein_single_back_len1386_dim1_sp_op_CI_CI
                                        ; -- End function
	.section	.AMDGPU.csdata,"",@progbits
; Kernel info:
; codeLenInByte = 9952
; NumSgprs: 24
; NumVgprs: 197
; ScratchSize: 0
; MemoryBound: 0
; FloatMode: 240
; IeeeMode: 1
; LDSByteSize: 11088 bytes/workgroup (compile time only)
; SGPRBlocks: 2
; VGPRBlocks: 49
; NumSGPRsForWavesPerEU: 24
; NumVGPRsForWavesPerEU: 197
; Occupancy: 1
; WaveLimiterHint : 1
; COMPUTE_PGM_RSRC2:SCRATCH_EN: 0
; COMPUTE_PGM_RSRC2:USER_SGPR: 6
; COMPUTE_PGM_RSRC2:TRAP_HANDLER: 0
; COMPUTE_PGM_RSRC2:TGID_X_EN: 1
; COMPUTE_PGM_RSRC2:TGID_Y_EN: 0
; COMPUTE_PGM_RSRC2:TGID_Z_EN: 0
; COMPUTE_PGM_RSRC2:TIDIG_COMP_CNT: 0
	.type	__hip_cuid_dbaa9626d3aa6c20,@object ; @__hip_cuid_dbaa9626d3aa6c20
	.section	.bss,"aw",@nobits
	.globl	__hip_cuid_dbaa9626d3aa6c20
__hip_cuid_dbaa9626d3aa6c20:
	.byte	0                               ; 0x0
	.size	__hip_cuid_dbaa9626d3aa6c20, 1

	.ident	"AMD clang version 19.0.0git (https://github.com/RadeonOpenCompute/llvm-project roc-6.4.0 25133 c7fe45cf4b819c5991fe208aaa96edf142730f1d)"
	.section	".note.GNU-stack","",@progbits
	.addrsig
	.addrsig_sym __hip_cuid_dbaa9626d3aa6c20
	.amdgpu_metadata
---
amdhsa.kernels:
  - .args:
      - .actual_access:  read_only
        .address_space:  global
        .offset:         0
        .size:           8
        .value_kind:     global_buffer
      - .actual_access:  read_only
        .address_space:  global
        .offset:         8
        .size:           8
        .value_kind:     global_buffer
      - .actual_access:  read_only
        .address_space:  global
        .offset:         16
        .size:           8
        .value_kind:     global_buffer
      - .actual_access:  read_only
        .address_space:  global
        .offset:         24
        .size:           8
        .value_kind:     global_buffer
      - .actual_access:  read_only
        .address_space:  global
        .offset:         32
        .size:           8
        .value_kind:     global_buffer
      - .offset:         40
        .size:           8
        .value_kind:     by_value
      - .address_space:  global
        .offset:         48
        .size:           8
        .value_kind:     global_buffer
      - .address_space:  global
        .offset:         56
        .size:           8
        .value_kind:     global_buffer
      - .address_space:  global
        .offset:         64
        .size:           8
        .value_kind:     global_buffer
      - .address_space:  global
        .offset:         72
        .size:           8
        .value_kind:     global_buffer
      - .offset:         80
        .size:           4
        .value_kind:     by_value
      - .address_space:  global
        .offset:         88
        .size:           8
        .value_kind:     global_buffer
      - .address_space:  global
        .offset:         96
        .size:           8
        .value_kind:     global_buffer
    .group_segment_fixed_size: 11088
    .kernarg_segment_align: 8
    .kernarg_segment_size: 104
    .language:       OpenCL C
    .language_version:
      - 2
      - 0
    .max_flat_workgroup_size: 231
    .name:           bluestein_single_back_len1386_dim1_sp_op_CI_CI
    .private_segment_fixed_size: 0
    .sgpr_count:     24
    .sgpr_spill_count: 0
    .symbol:         bluestein_single_back_len1386_dim1_sp_op_CI_CI.kd
    .uniform_work_group_size: 1
    .uses_dynamic_stack: false
    .vgpr_count:     197
    .vgpr_spill_count: 0
    .wavefront_size: 64
amdhsa.target:   amdgcn-amd-amdhsa--gfx906
amdhsa.version:
  - 1
  - 2
...

	.end_amdgpu_metadata
